;; amdgpu-corpus repo=ROCm/hip-tests kind=compiled arch=gfx906 opt=O3
	.amdgcn_target "amdgcn-amd-amdhsa--gfx906"
	.amdhsa_code_object_version 6
	.text
	.protected	_Z7kernel1PmmS_S_       ; -- Begin function _Z7kernel1PmmS_S_
	.globl	_Z7kernel1PmmS_S_
	.p2align	8
	.type	_Z7kernel1PmmS_S_,@function
_Z7kernel1PmmS_S_:                      ; @_Z7kernel1PmmS_S_
; %bb.0:
	s_load_dword s7, s[4:5], 0x2c
	s_load_dwordx8 s[8:15], s[4:5], 0x0
	s_memrealtime s[0:1]
	s_memtime s[2:3]
	v_mov_b32_e32 v3, 0
	s_waitcnt lgkmcnt(0)
	s_and_b32 s4, s7, 0xffff
	s_mul_i32 s6, s6, s4
	v_add_u32_e32 v0, s6, v0
	v_mov_b32_e32 v1, v3
	s_cmp_eq_u64 s[10:11], 0
	s_mov_b64 s[4:5], 0
	s_cbranch_scc1 .LBB0_3
; %bb.1:
	s_sub_u32 s6, 0, s10
	v_mov_b32_e32 v5, v1
	s_subb_u32 s7, 0, s11
	s_mov_b32 s16, 0xdd67c8b
	s_mov_b32 s17, 0xdd67c8a6
	;; [unrolled: 1-line block ×4, first 2 shown]
	s_mov_b64 s[10:11], 0
	v_mov_b32_e32 v4, v0
.LBB0_2:                                ; =>This Inner Loop Header: Depth=1
	v_mad_u64_u32 v[6:7], s[20:21], v4, s10, 0
	v_mul_lo_u32 v8, v5, s10
	v_mul_lo_u32 v9, v4, s11
	v_mul_hi_u32 v2, v6, s16
	s_add_u32 s10, s10, 1
	s_addc_u32 s11, s11, 0
	v_add3_u32 v9, v7, v9, v8
	v_mad_u64_u32 v[7:8], s[20:21], v9, s16, v[2:3]
	v_mov_b32_e32 v2, v7
	v_mad_u64_u32 v[6:7], s[20:21], v6, s17, v[2:3]
	v_mov_b32_e32 v2, s5
	v_add_co_u32_e32 v6, vcc, v8, v7
	v_addc_co_u32_e64 v7, s[20:21], 0, 0, vcc
	v_mad_u64_u32 v[6:7], s[20:21], v9, s17, v[6:7]
	v_lshrrev_b64 v[6:7], 5, v[6:7]
	v_add_co_u32_e32 v4, vcc, v4, v6
	v_addc_co_u32_e32 v5, vcc, v5, v7, vcc
	v_add_co_u32_e32 v6, vcc, s4, v4
	v_addc_co_u32_e32 v8, vcc, v2, v5, vcc
	v_mul_hi_u32 v2, v6, s18
	s_add_u32 s4, s4, -1
	s_addc_u32 s5, s5, -1
	s_cmp_eq_u64 s[6:7], s[4:5]
	v_mad_u64_u32 v[4:5], s[20:21], v8, s18, v[2:3]
	v_mov_b32_e32 v2, v4
	v_mad_u64_u32 v[6:7], s[20:21], v6, s19, v[2:3]
	v_add_co_u32_e32 v4, vcc, v5, v7
	v_addc_co_u32_e64 v5, s[20:21], 0, 0, vcc
	v_mad_u64_u32 v[4:5], s[20:21], v8, s19, v[4:5]
	v_lshrrev_b64 v[4:5], 9, v[4:5]
	s_cbranch_scc0 .LBB0_2
	s_branch .LBB0_4
.LBB0_3:
	v_mov_b32_e32 v5, v1
	v_mov_b32_e32 v4, v0
.LBB0_4:
	v_lshlrev_b64 v[0:1], 3, v[0:1]
	v_mov_b32_e32 v3, s9
	v_add_co_u32_e32 v2, vcc, s8, v0
	v_addc_co_u32_e32 v3, vcc, v3, v1, vcc
	global_store_dwordx2 v[2:3], v[4:5], off
	s_memtime s[4:5]
	v_mov_b32_e32 v3, s13
	v_add_co_u32_e32 v2, vcc, s12, v0
	v_addc_co_u32_e32 v3, vcc, v3, v1, vcc
	s_waitcnt lgkmcnt(0)
	s_sub_u32 s2, s4, s2
	s_subb_u32 s3, s5, s3
	v_mov_b32_e32 v5, s3
	v_mov_b32_e32 v4, s2
	global_store_dwordx2 v[2:3], v[4:5], off
	s_memrealtime s[2:3]
	v_mov_b32_e32 v2, s15
	v_add_co_u32_e32 v0, vcc, s14, v0
	v_addc_co_u32_e32 v1, vcc, v2, v1, vcc
	s_waitcnt lgkmcnt(0)
	s_sub_u32 s0, s2, s0
	s_subb_u32 s1, s3, s1
	v_mov_b32_e32 v3, s1
	v_mov_b32_e32 v2, s0
	global_store_dwordx2 v[0:1], v[2:3], off
	s_endpgm
	.section	.rodata,"a",@progbits
	.p2align	6, 0x0
	.amdhsa_kernel _Z7kernel1PmmS_S_
		.amdhsa_group_segment_fixed_size 0
		.amdhsa_private_segment_fixed_size 0
		.amdhsa_kernarg_size 288
		.amdhsa_user_sgpr_count 6
		.amdhsa_user_sgpr_private_segment_buffer 1
		.amdhsa_user_sgpr_dispatch_ptr 0
		.amdhsa_user_sgpr_queue_ptr 0
		.amdhsa_user_sgpr_kernarg_segment_ptr 1
		.amdhsa_user_sgpr_dispatch_id 0
		.amdhsa_user_sgpr_flat_scratch_init 0
		.amdhsa_user_sgpr_private_segment_size 0
		.amdhsa_uses_dynamic_stack 0
		.amdhsa_system_sgpr_private_segment_wavefront_offset 0
		.amdhsa_system_sgpr_workgroup_id_x 1
		.amdhsa_system_sgpr_workgroup_id_y 0
		.amdhsa_system_sgpr_workgroup_id_z 0
		.amdhsa_system_sgpr_workgroup_info 0
		.amdhsa_system_vgpr_workitem_id 0
		.amdhsa_next_free_vgpr 10
		.amdhsa_next_free_sgpr 22
		.amdhsa_reserve_vcc 1
		.amdhsa_reserve_flat_scratch 0
		.amdhsa_float_round_mode_32 0
		.amdhsa_float_round_mode_16_64 0
		.amdhsa_float_denorm_mode_32 3
		.amdhsa_float_denorm_mode_16_64 3
		.amdhsa_dx10_clamp 1
		.amdhsa_ieee_mode 1
		.amdhsa_fp16_overflow 0
		.amdhsa_exception_fp_ieee_invalid_op 0
		.amdhsa_exception_fp_denorm_src 0
		.amdhsa_exception_fp_ieee_div_zero 0
		.amdhsa_exception_fp_ieee_overflow 0
		.amdhsa_exception_fp_ieee_underflow 0
		.amdhsa_exception_fp_ieee_inexact 0
		.amdhsa_exception_int_div_zero 0
	.end_amdhsa_kernel
	.text
.Lfunc_end0:
	.size	_Z7kernel1PmmS_S_, .Lfunc_end0-_Z7kernel1PmmS_S_
                                        ; -- End function
	.set _Z7kernel1PmmS_S_.num_vgpr, 10
	.set _Z7kernel1PmmS_S_.num_agpr, 0
	.set _Z7kernel1PmmS_S_.numbered_sgpr, 22
	.set _Z7kernel1PmmS_S_.num_named_barrier, 0
	.set _Z7kernel1PmmS_S_.private_seg_size, 0
	.set _Z7kernel1PmmS_S_.uses_vcc, 1
	.set _Z7kernel1PmmS_S_.uses_flat_scratch, 0
	.set _Z7kernel1PmmS_S_.has_dyn_sized_stack, 0
	.set _Z7kernel1PmmS_S_.has_recursion, 0
	.set _Z7kernel1PmmS_S_.has_indirect_call, 0
	.section	.AMDGPU.csdata,"",@progbits
; Kernel info:
; codeLenInByte = 452
; TotalNumSgprs: 26
; NumVgprs: 10
; ScratchSize: 0
; MemoryBound: 0
; FloatMode: 240
; IeeeMode: 1
; LDSByteSize: 0 bytes/workgroup (compile time only)
; SGPRBlocks: 3
; VGPRBlocks: 2
; NumSGPRsForWavesPerEU: 26
; NumVGPRsForWavesPerEU: 10
; Occupancy: 10
; WaveLimiterHint : 0
; COMPUTE_PGM_RSRC2:SCRATCH_EN: 0
; COMPUTE_PGM_RSRC2:USER_SGPR: 6
; COMPUTE_PGM_RSRC2:TRAP_HANDLER: 0
; COMPUTE_PGM_RSRC2:TGID_X_EN: 1
; COMPUTE_PGM_RSRC2:TGID_Y_EN: 0
; COMPUTE_PGM_RSRC2:TGID_Z_EN: 0
; COMPUTE_PGM_RSRC2:TIDIG_COMP_CNT: 0
	.section	.AMDGPU.gpr_maximums,"",@progbits
	.set amdgpu.max_num_vgpr, 0
	.set amdgpu.max_num_agpr, 0
	.set amdgpu.max_num_sgpr, 0
	.section	.AMDGPU.csdata,"",@progbits
	.type	__hip_cuid_4d49e33ac6df1494,@object ; @__hip_cuid_4d49e33ac6df1494
	.section	.bss,"aw",@nobits
	.globl	__hip_cuid_4d49e33ac6df1494
__hip_cuid_4d49e33ac6df1494:
	.byte	0                               ; 0x0
	.size	__hip_cuid_4d49e33ac6df1494, 1

	.ident	"AMD clang version 22.0.0git (https://github.com/RadeonOpenCompute/llvm-project roc-7.2.4 26084 f58b06dce1f9c15707c5f808fd002e18c2accf7e)"
	.section	".note.GNU-stack","",@progbits
	.addrsig
	.addrsig_sym __hip_cuid_4d49e33ac6df1494
	.amdgpu_metadata
---
amdhsa.kernels:
  - .args:
      - .address_space:  global
        .offset:         0
        .size:           8
        .value_kind:     global_buffer
      - .offset:         8
        .size:           8
        .value_kind:     by_value
      - .address_space:  global
        .offset:         16
        .size:           8
        .value_kind:     global_buffer
      - .address_space:  global
        .offset:         24
        .size:           8
        .value_kind:     global_buffer
      - .offset:         32
        .size:           4
        .value_kind:     hidden_block_count_x
      - .offset:         36
        .size:           4
        .value_kind:     hidden_block_count_y
      - .offset:         40
        .size:           4
        .value_kind:     hidden_block_count_z
      - .offset:         44
        .size:           2
        .value_kind:     hidden_group_size_x
      - .offset:         46
        .size:           2
        .value_kind:     hidden_group_size_y
      - .offset:         48
        .size:           2
        .value_kind:     hidden_group_size_z
      - .offset:         50
        .size:           2
        .value_kind:     hidden_remainder_x
      - .offset:         52
        .size:           2
        .value_kind:     hidden_remainder_y
      - .offset:         54
        .size:           2
        .value_kind:     hidden_remainder_z
      - .offset:         72
        .size:           8
        .value_kind:     hidden_global_offset_x
      - .offset:         80
        .size:           8
        .value_kind:     hidden_global_offset_y
      - .offset:         88
        .size:           8
        .value_kind:     hidden_global_offset_z
      - .offset:         96
        .size:           2
        .value_kind:     hidden_grid_dims
    .group_segment_fixed_size: 0
    .kernarg_segment_align: 8
    .kernarg_segment_size: 288
    .language:       OpenCL C
    .language_version:
      - 2
      - 0
    .max_flat_workgroup_size: 1024
    .name:           _Z7kernel1PmmS_S_
    .private_segment_fixed_size: 0
    .sgpr_count:     26
    .sgpr_spill_count: 0
    .symbol:         _Z7kernel1PmmS_S_.kd
    .uniform_work_group_size: 1
    .uses_dynamic_stack: false
    .vgpr_count:     10
    .vgpr_spill_count: 0
    .wavefront_size: 64
amdhsa.target:   amdgcn-amd-amdhsa--gfx906
amdhsa.version:
  - 1
  - 2
...

	.end_amdgpu_metadata
